;; amdgpu-corpus repo=ROCm/rocFFT kind=compiled arch=gfx950 opt=O3
	.text
	.amdgcn_target "amdgcn-amd-amdhsa--gfx950"
	.amdhsa_code_object_version 6
	.protected	fft_rtc_back_len1080_factors_6_10_6_3_wgs_216_tpt_108_halfLds_sp_ip_CI_unitstride_sbrr_dirReg ; -- Begin function fft_rtc_back_len1080_factors_6_10_6_3_wgs_216_tpt_108_halfLds_sp_ip_CI_unitstride_sbrr_dirReg
	.globl	fft_rtc_back_len1080_factors_6_10_6_3_wgs_216_tpt_108_halfLds_sp_ip_CI_unitstride_sbrr_dirReg
	.p2align	8
	.type	fft_rtc_back_len1080_factors_6_10_6_3_wgs_216_tpt_108_halfLds_sp_ip_CI_unitstride_sbrr_dirReg,@function
fft_rtc_back_len1080_factors_6_10_6_3_wgs_216_tpt_108_halfLds_sp_ip_CI_unitstride_sbrr_dirReg: ; @fft_rtc_back_len1080_factors_6_10_6_3_wgs_216_tpt_108_halfLds_sp_ip_CI_unitstride_sbrr_dirReg
; %bb.0:
	s_load_dwordx2 s[4:5], s[0:1], 0x50
	s_load_dwordx4 s[8:11], s[0:1], 0x0
	s_load_dwordx2 s[6:7], s[0:1], 0x18
	v_mul_u32_u24_e32 v1, 0x25f, v0
	v_lshrrev_b32_e32 v30, 16, v1
	v_lshl_add_u32 v6, s2, 1, v30
	v_mov_b32_e32 v4, 0
	s_waitcnt lgkmcnt(0)
	v_cmp_lt_u64_e64 s[2:3], s[10:11], 2
	v_mov_b32_e32 v7, v4
	s_and_b64 vcc, exec, s[2:3]
	v_mov_b64_e32 v[2:3], 0
	s_cbranch_vccnz .LBB0_8
; %bb.1:
	s_load_dwordx2 s[2:3], s[0:1], 0x10
	s_add_u32 s12, s6, 8
	s_addc_u32 s13, s7, 0
	s_mov_b64 s[14:15], 1
	v_mov_b64_e32 v[2:3], 0
	s_waitcnt lgkmcnt(0)
	s_add_u32 s16, s2, 8
	s_addc_u32 s17, s3, 0
.LBB0_2:                                ; =>This Inner Loop Header: Depth=1
	s_load_dwordx2 s[18:19], s[16:17], 0x0
                                        ; implicit-def: $vgpr8_vgpr9
	s_waitcnt lgkmcnt(0)
	v_or_b32_e32 v5, s19, v7
	v_cmp_ne_u64_e32 vcc, 0, v[4:5]
	s_and_saveexec_b64 s[2:3], vcc
	s_xor_b64 s[20:21], exec, s[2:3]
	s_cbranch_execz .LBB0_4
; %bb.3:                                ;   in Loop: Header=BB0_2 Depth=1
	v_cvt_f32_u32_e32 v1, s18
	v_cvt_f32_u32_e32 v5, s19
	s_sub_u32 s2, 0, s18
	s_subb_u32 s3, 0, s19
	v_fmac_f32_e32 v1, 0x4f800000, v5
	v_rcp_f32_e32 v1, v1
	s_nop 0
	v_mul_f32_e32 v1, 0x5f7ffffc, v1
	v_mul_f32_e32 v5, 0x2f800000, v1
	v_trunc_f32_e32 v5, v5
	v_fmac_f32_e32 v1, 0xcf800000, v5
	v_cvt_u32_f32_e32 v5, v5
	v_cvt_u32_f32_e32 v1, v1
	v_mul_lo_u32 v8, s2, v5
	v_mul_hi_u32 v10, s2, v1
	v_mul_lo_u32 v9, s3, v1
	v_add_u32_e32 v10, v10, v8
	v_mul_lo_u32 v12, s2, v1
	v_add_u32_e32 v13, v10, v9
	v_mul_hi_u32 v8, v1, v12
	v_mul_hi_u32 v11, v1, v13
	v_mul_lo_u32 v10, v1, v13
	v_mov_b32_e32 v9, v4
	v_lshl_add_u64 v[8:9], v[8:9], 0, v[10:11]
	v_mul_hi_u32 v11, v5, v12
	v_mul_lo_u32 v12, v5, v12
	v_add_co_u32_e32 v8, vcc, v8, v12
	v_mul_hi_u32 v10, v5, v13
	s_nop 0
	v_addc_co_u32_e32 v8, vcc, v9, v11, vcc
	v_mov_b32_e32 v9, v4
	s_nop 0
	v_addc_co_u32_e32 v11, vcc, 0, v10, vcc
	v_mul_lo_u32 v10, v5, v13
	v_lshl_add_u64 v[8:9], v[8:9], 0, v[10:11]
	v_add_co_u32_e32 v1, vcc, v1, v8
	v_mul_lo_u32 v10, s2, v1
	s_nop 0
	v_addc_co_u32_e32 v5, vcc, v5, v9, vcc
	v_mul_lo_u32 v8, s2, v5
	v_mul_hi_u32 v9, s2, v1
	v_add_u32_e32 v8, v9, v8
	v_mul_lo_u32 v9, s3, v1
	v_add_u32_e32 v12, v8, v9
	v_mul_hi_u32 v14, v5, v10
	v_mul_lo_u32 v15, v5, v10
	v_mul_hi_u32 v9, v1, v12
	v_mul_lo_u32 v8, v1, v12
	v_mul_hi_u32 v10, v1, v10
	v_mov_b32_e32 v11, v4
	v_lshl_add_u64 v[8:9], v[10:11], 0, v[8:9]
	v_add_co_u32_e32 v8, vcc, v8, v15
	v_mul_hi_u32 v13, v5, v12
	s_nop 0
	v_addc_co_u32_e32 v8, vcc, v9, v14, vcc
	v_mul_lo_u32 v10, v5, v12
	s_nop 0
	v_addc_co_u32_e32 v11, vcc, 0, v13, vcc
	v_mov_b32_e32 v9, v4
	v_lshl_add_u64 v[8:9], v[8:9], 0, v[10:11]
	v_add_co_u32_e32 v1, vcc, v1, v8
	v_mul_hi_u32 v10, v6, v1
	s_nop 0
	v_addc_co_u32_e32 v5, vcc, v5, v9, vcc
	v_mad_u64_u32 v[8:9], s[2:3], v6, v5, 0
	v_mov_b32_e32 v11, v4
	v_lshl_add_u64 v[8:9], v[10:11], 0, v[8:9]
	v_mad_u64_u32 v[12:13], s[2:3], v7, v1, 0
	v_add_co_u32_e32 v1, vcc, v8, v12
	v_mad_u64_u32 v[10:11], s[2:3], v7, v5, 0
	s_nop 0
	v_addc_co_u32_e32 v8, vcc, v9, v13, vcc
	v_mov_b32_e32 v9, v4
	s_nop 0
	v_addc_co_u32_e32 v11, vcc, 0, v11, vcc
	v_lshl_add_u64 v[8:9], v[8:9], 0, v[10:11]
	v_mul_lo_u32 v1, s19, v8
	v_mul_lo_u32 v5, s18, v9
	v_mad_u64_u32 v[10:11], s[2:3], s18, v8, 0
	v_add3_u32 v1, v11, v5, v1
	v_sub_u32_e32 v5, v7, v1
	v_mov_b32_e32 v11, s19
	v_sub_co_u32_e32 v14, vcc, v6, v10
	v_lshl_add_u64 v[12:13], v[8:9], 0, 1
	s_nop 0
	v_subb_co_u32_e64 v5, s[2:3], v5, v11, vcc
	v_subrev_co_u32_e64 v10, s[2:3], s18, v14
	v_subb_co_u32_e32 v1, vcc, v7, v1, vcc
	s_nop 0
	v_subbrev_co_u32_e64 v5, s[2:3], 0, v5, s[2:3]
	v_cmp_le_u32_e64 s[2:3], s19, v5
	v_cmp_le_u32_e32 vcc, s19, v1
	s_nop 0
	v_cndmask_b32_e64 v11, 0, -1, s[2:3]
	v_cmp_le_u32_e64 s[2:3], s18, v10
	s_nop 1
	v_cndmask_b32_e64 v10, 0, -1, s[2:3]
	v_cmp_eq_u32_e64 s[2:3], s19, v5
	s_nop 1
	v_cndmask_b32_e64 v5, v11, v10, s[2:3]
	v_lshl_add_u64 v[10:11], v[8:9], 0, 2
	v_cmp_ne_u32_e64 s[2:3], 0, v5
	s_nop 1
	v_cndmask_b32_e64 v5, v13, v11, s[2:3]
	v_cndmask_b32_e64 v11, 0, -1, vcc
	v_cmp_le_u32_e32 vcc, s18, v14
	s_nop 1
	v_cndmask_b32_e64 v13, 0, -1, vcc
	v_cmp_eq_u32_e32 vcc, s19, v1
	s_nop 1
	v_cndmask_b32_e32 v1, v11, v13, vcc
	v_cmp_ne_u32_e32 vcc, 0, v1
	v_cndmask_b32_e64 v1, v12, v10, s[2:3]
	s_nop 0
	v_cndmask_b32_e32 v9, v9, v5, vcc
	v_cndmask_b32_e32 v8, v8, v1, vcc
.LBB0_4:                                ;   in Loop: Header=BB0_2 Depth=1
	s_andn2_saveexec_b64 s[2:3], s[20:21]
	s_cbranch_execz .LBB0_6
; %bb.5:                                ;   in Loop: Header=BB0_2 Depth=1
	v_cvt_f32_u32_e32 v1, s18
	s_sub_i32 s20, 0, s18
	v_rcp_iflag_f32_e32 v1, v1
	s_nop 0
	v_mul_f32_e32 v1, 0x4f7ffffe, v1
	v_cvt_u32_f32_e32 v1, v1
	v_mul_lo_u32 v5, s20, v1
	v_mul_hi_u32 v5, v1, v5
	v_add_u32_e32 v1, v1, v5
	v_mul_hi_u32 v1, v6, v1
	v_mul_lo_u32 v5, v1, s18
	v_sub_u32_e32 v5, v6, v5
	v_add_u32_e32 v8, 1, v1
	v_subrev_u32_e32 v9, s18, v5
	v_cmp_le_u32_e32 vcc, s18, v5
	s_nop 1
	v_cndmask_b32_e32 v5, v5, v9, vcc
	v_cndmask_b32_e32 v1, v1, v8, vcc
	v_add_u32_e32 v8, 1, v1
	v_cmp_le_u32_e32 vcc, s18, v5
	v_mov_b32_e32 v9, v4
	s_nop 0
	v_cndmask_b32_e32 v8, v1, v8, vcc
.LBB0_6:                                ;   in Loop: Header=BB0_2 Depth=1
	s_or_b64 exec, exec, s[2:3]
	v_mad_u64_u32 v[10:11], s[2:3], v8, s18, 0
	s_load_dwordx2 s[2:3], s[12:13], 0x0
	v_mul_lo_u32 v1, v9, s18
	v_mul_lo_u32 v5, v8, s19
	v_add3_u32 v1, v11, v5, v1
	v_sub_co_u32_e32 v5, vcc, v6, v10
	s_add_u32 s14, s14, 1
	s_nop 0
	v_subb_co_u32_e32 v1, vcc, v7, v1, vcc
	s_addc_u32 s15, s15, 0
	s_waitcnt lgkmcnt(0)
	v_mul_lo_u32 v1, s2, v1
	v_mul_lo_u32 v6, s3, v5
	v_mad_u64_u32 v[2:3], s[2:3], s2, v5, v[2:3]
	s_add_u32 s12, s12, 8
	v_add3_u32 v3, v6, v3, v1
	s_addc_u32 s13, s13, 0
	v_mov_b64_e32 v[6:7], s[10:11]
	s_add_u32 s16, s16, 8
	v_cmp_ge_u64_e32 vcc, s[14:15], v[6:7]
	s_addc_u32 s17, s17, 0
	s_cbranch_vccnz .LBB0_9
; %bb.7:                                ;   in Loop: Header=BB0_2 Depth=1
	v_mov_b64_e32 v[6:7], v[8:9]
	s_branch .LBB0_2
.LBB0_8:
	v_mov_b64_e32 v[8:9], v[6:7]
.LBB0_9:
	s_lshl_b64 s[2:3], s[10:11], 3
	s_add_u32 s2, s6, s2
	s_addc_u32 s3, s7, s3
	s_load_dwordx2 s[6:7], s[2:3], 0x0
	s_load_dwordx2 s[10:11], s[0:1], 0x20
	s_mov_b32 s2, 0x25ed098
                                        ; implicit-def: $vgpr24
                                        ; implicit-def: $vgpr26
                                        ; implicit-def: $vgpr18
                                        ; implicit-def: $vgpr14
                                        ; implicit-def: $vgpr12
                                        ; implicit-def: $vgpr20
                                        ; implicit-def: $vgpr10
                                        ; implicit-def: $vgpr16
                                        ; implicit-def: $vgpr28
                                        ; implicit-def: $vgpr22
                                        ; implicit-def: $vgpr6
	s_waitcnt lgkmcnt(0)
	v_mul_lo_u32 v1, s6, v9
	v_mul_lo_u32 v4, s7, v8
	v_mad_u64_u32 v[2:3], s[0:1], s6, v8, v[2:3]
	v_add3_u32 v3, v4, v3, v1
	v_mul_hi_u32 v1, v0, s2
	v_mul_u32_u24_e32 v1, 0x6c, v1
	v_cmp_gt_u64_e64 s[0:1], s[10:11], v[8:9]
	v_sub_u32_e32 v0, v0, v1
	v_lshl_add_u64 v[2:3], v[2:3], 3, s[4:5]
                                        ; implicit-def: $vgpr4
                                        ; implicit-def: $vgpr8
                                        ; implicit-def: $vgpr1
	s_and_saveexec_b64 s[2:3], s[0:1]
	s_cbranch_execz .LBB0_13
; %bb.10:
	v_mov_b32_e32 v1, 0
	v_lshl_add_u64 v[18:19], v[0:1], 3, v[2:3]
	v_add_co_u32_e32 v4, vcc, 0x1000, v18
	s_movk_i32 s4, 0x48
	s_nop 0
	v_addc_co_u32_e32 v5, vcc, 0, v19, vcc
	global_load_dwordx2 v[20:21], v[18:19], off
	global_load_dwordx2 v[16:17], v[18:19], off offset:1440
	global_load_dwordx2 v[10:11], v[18:19], off offset:2880
	;; [unrolled: 1-line block ×5, first 2 shown]
	v_cmp_gt_u32_e32 vcc, s4, v0
                                        ; implicit-def: $vgpr7
                                        ; implicit-def: $vgpr23
                                        ; implicit-def: $vgpr29
                                        ; implicit-def: $vgpr27
                                        ; implicit-def: $vgpr25
                                        ; implicit-def: $vgpr5
	s_and_saveexec_b64 s[4:5], vcc
	s_cbranch_execz .LBB0_12
; %bb.11:
	v_add_co_u32_e32 v32, vcc, 0x1000, v18
	global_load_dwordx2 v[6:7], v[18:19], off offset:864
	s_nop 0
	v_addc_co_u32_e32 v33, vcc, 0, v19, vcc
	global_load_dwordx2 v[4:5], v[32:33], off offset:1088
	global_load_dwordx2 v[22:23], v[18:19], off offset:3744
	;; [unrolled: 1-line block ×5, first 2 shown]
.LBB0_12:
	s_or_b64 exec, exec, s[4:5]
	s_waitcnt vmcnt(2)
	v_mov_b32_e32 v18, v15
	v_mov_b32_e32 v19, v21
	;; [unrolled: 1-line block ×3, first 2 shown]
	s_waitcnt vmcnt(0)
	v_mov_b32_e32 v20, v13
	v_mov_b32_e32 v1, v17
.LBB0_13:
	s_or_b64 exec, exec, s[2:3]
	v_and_b32_e32 v13, 1, v30
	v_mov_b32_e32 v17, 0x438
	v_cmp_eq_u32_e32 vcc, 1, v13
	v_pk_add_f32 v[38:39], v[10:11], v[14:15] op_sel_hi:[0,1]
	v_pk_add_f32 v[34:35], v[8:9], v[10:11]
	v_pk_add_f32 v[30:31], v[10:11], v[8:9] neg_lo:[0,1] neg_hi:[0,1]
	v_add_f32_e32 v10, v12, v14
	v_cndmask_b32_e32 v44, 0, v17, vcc
	v_mul_f32_e32 v17, 0.5, v34
	v_fma_f32 v34, -0.5, v10, v16
	v_sub_f32_e32 v10, v18, v20
	v_mul_f32_e32 v46, 0x3f5db3d7, v10
	v_add_f32_e32 v10, v20, v18
	v_mov_b32_e32 v48, v1
	v_mul_f32_e32 v13, 0x3f5db3d7, v31
	v_fmac_f32_e32 v48, -0.5, v10
	v_sub_f32_e32 v10, v14, v12
	v_pk_add_f32 v[52:53], v[14:15], v[16:17]
	v_pk_add_f32 v[14:15], v[14:15], v[16:17] neg_lo:[0,1] neg_hi:[0,1]
	v_mul_f32_e32 v50, 0x3f5db3d7, v10
	v_pk_add_f32 v[32:33], v[28:29], v[22:23]
	v_pk_add_f32 v[36:37], v[22:23], v[28:29] neg_lo:[0,1] neg_hi:[0,1]
	v_pk_add_f32 v[22:23], v[22:23], v[6:7]
	v_pk_add_f32 v[52:53], v[52:53], v[12:13]
	v_pk_add_f32 v[54:55], v[14:15], v[12:13] neg_lo:[0,1] neg_hi:[0,1]
	v_mov_b32_e32 v38, v13
	v_mov_b32_e32 v12, v15
	;; [unrolled: 1-line block ×3, first 2 shown]
	s_mov_b32 s6, 0x3f5db3d7
	v_pk_add_f32 v[22:23], v[28:29], v[22:23]
	v_pk_add_f32 v[28:29], v[24:25], v[4:5]
	v_pk_add_f32 v[40:41], v[4:5], v[24:25] neg_lo:[0,1] neg_hi:[0,1]
	v_pk_add_f32 v[4:5], v[4:5], v[26:27]
	v_pk_add_f32 v[56:57], v[38:39], v[12:13]
	v_pk_add_f32 v[38:39], v[48:49], v[50:51] op_sel_hi:[0,0]
	v_pk_add_f32 v[14:15], v[48:49], v[50:51] op_sel_hi:[0,0] neg_lo:[0,1] neg_hi:[0,1]
	v_mov_b32_e32 v10, v6
	v_pk_add_f32 v[24:25], v[24:25], v[4:5]
	v_pk_fma_f32 v[4:5], -0.5, v[28:29], v[26:27] op_sel_hi:[0,1,1]
	v_pk_mul_f32 v[28:29], v[40:41], s[6:7] op_sel_hi:[1,0]
	v_pk_add_f32 v[16:17], v[34:35], v[46:47] op_sel_hi:[0,0] neg_lo:[0,1] neg_hi:[0,1]
	v_pk_add_f32 v[12:13], v[34:35], v[46:47] op_sel_hi:[0,0]
	v_mov_b32_e32 v39, v15
	s_mov_b32 s4, 0.5
	s_mov_b32 s5, -0.5
	v_fmac_f32_e32 v10, -0.5, v32
	v_mul_f32_e32 v32, 0x3f5db3d7, v37
	v_pk_fma_f32 v[26:27], v[40:41], s[6:7], v[4:5] op_sel:[0,0,1] op_sel_hi:[1,0,0]
	v_pk_add_f32 v[28:29], v[4:5], v[28:29] op_sel:[0,1] op_sel_hi:[1,0] neg_lo:[0,1] neg_hi:[0,1]
	v_mov_b32_e32 v17, v13
	v_pk_mul_f32 v[46:47], v[38:39], s[6:7] op_sel_hi:[1,0]
	v_pk_add_f32 v[40:41], v[10:11], v[32:33] neg_lo:[0,1] neg_hi:[0,1]
	v_pk_add_f32 v[4:5], v[10:11], v[32:33]
	v_mov_b32_e32 v42, v26
	v_mov_b32_e32 v43, v29
	v_pk_fma_f32 v[46:47], v[16:17], s[4:5], v[46:47] neg_lo:[0,0,1] neg_hi:[0,0,1]
	v_mov_b32_e32 v41, v4
	v_mov_b32_e32 v4, v28
	;; [unrolled: 1-line block ×3, first 2 shown]
	v_pk_mul_f32 v[42:43], v[42:43], s[6:7] op_sel_hi:[1,0]
	v_mov_b32_e32 v53, v55
	v_mov_b32_e32 v21, v52
	;; [unrolled: 1-line block ×5, first 2 shown]
	s_movk_i32 s2, 0x47
	v_pk_fma_f32 v[42:43], v[4:5], s[4:5], v[42:43] neg_lo:[0,0,1] neg_hi:[0,0,1]
	v_mad_u32_u24 v10, v0, 24, 0
	v_pk_add_f32 v[48:49], v[52:53], v[48:49]
	v_pk_add_f32 v[50:51], v[56:57], v[6:7]
	v_pk_add_f32 v[52:53], v[56:57], v[20:21] neg_lo:[0,1] neg_hi:[0,1]
	v_cmp_lt_u32_e32 vcc, s2, v0
	s_movk_i32 s2, 0x48
	v_pk_add_f32 v[4:5], v[40:41], v[42:43] neg_lo:[0,1] neg_hi:[0,1]
	v_lshl_add_u32 v31, v44, 2, v10
	v_mov_b32_e32 v54, v55
	v_mov_b32_e32 v55, v56
	;; [unrolled: 1-line block ×3, first 2 shown]
	v_cmp_gt_u32_e64 s[2:3], s2, v0
	v_pk_add_f32 v[46:47], v[54:55], v[46:47] neg_lo:[0,1] neg_hi:[0,1]
	ds_write2_b64 v31, v[48:49], v[50:51] offset1:1
	ds_write_b64 v31, v[46:47] offset:16
	s_and_saveexec_b64 s[10:11], s[2:3]
	s_cbranch_execz .LBB0_15
; %bb.14:
	v_mov_b32_e32 v6, v41
	v_mov_b32_e32 v46, v24
	v_mov_b32_e32 v47, v40
	v_mov_b32_e32 v8, v43
	v_mov_b32_e32 v40, v22
	v_mov_b32_e32 v41, v42
	v_mov_b32_e32 v17, v22
	v_mov_b32_e32 v42, v43
	v_mov_b32_e32 v43, v24
	v_pk_add_f32 v[40:41], v[46:47], v[40:41]
	v_pk_add_f32 v[46:47], v[6:7], v[8:9]
	v_pk_add_f32 v[42:43], v[16:17], v[42:43] neg_lo:[0,1] neg_hi:[0,1]
	v_add_u32_e32 v12, 0xa20, v31
	v_mov_b32_e32 v47, v43
	ds_write2_b64 v12, v[40:41], v[46:47] offset1:1
	ds_write_b64 v31, v[4:5] offset:2608
.LBB0_15:
	s_or_b64 exec, exec, s[10:11]
	v_mul_f32_e32 v35, 0.5, v35
	v_mov_b32_e32 v34, v1
	v_add_f32_e32 v32, v11, v19
	v_pk_add_f32 v[40:41], v[18:19], v[34:35]
	v_pk_add_f32 v[18:19], v[18:19], v[34:35] neg_lo:[0,1] neg_hi:[0,1]
	v_fmac_f32_e32 v7, -0.5, v33
	v_mul_f32_e32 v21, 0x3f5db3d7, v30
	v_mov_b32_e32 v41, v19
	v_mul_f32_e32 v6, 0x3f5db3d7, v36
	v_mov_b32_e32 v8, v7
	s_mov_b32 s7, s4
	v_pk_add_f32 v[34:35], v[20:21], v[40:41]
	v_pk_add_f32 v[36:37], v[8:9], v[6:7] neg_lo:[0,1] neg_hi:[0,1]
	v_pk_add_f32 v[20:21], v[8:9], v[6:7]
	s_mov_b32 s5, s6
	v_pk_mul_f32 v[6:7], v[28:29], s[6:7]
	v_mul_f32_e32 v33, 0x3f5db3d7, v16
	v_pk_fma_f32 v[28:29], v[26:27], s[4:5], v[6:7] neg_lo:[0,0,1] neg_hi:[0,0,1]
	v_pk_fma_f32 v[26:27], v[26:27], s[4:5], v[6:7]
	v_mov_b32_e32 v28, v9
	v_mov_b32_e32 v27, v29
	v_mul_f32_e32 v29, 0.5, v38
	v_lshlrev_b32_e32 v45, 2, v44
	v_lshlrev_b32_e32 v1, 2, v0
	v_pk_add_f32 v[8:9], v[28:29], v[32:33]
	v_mul_f32_e32 v16, -0.5, v15
	v_add3_u32 v44, 0, v45, v1
	v_mul_i32_i24_e32 v1, 0xffffffec, v0
	v_fmamk_f32 v19, v30, 0xbf5db3d7, v19
	v_fmac_f32_e32 v16, 0x3f5db3d7, v13
	v_pk_add_f32 v[28:29], v[8:9], v[34:35] op_sel:[1,1] op_sel_hi:[0,0] neg_lo:[0,1] neg_hi:[0,1]
	v_add3_u32 v1, v10, v1, v45
	v_mov_b32_e32 v18, v35
	v_mov_b32_e32 v17, v34
	;; [unrolled: 1-line block ×3, first 2 shown]
	v_pk_add_f32 v[32:33], v[34:35], v[8:9]
	v_mov_b32_e32 v12, v9
	v_mov_b32_e32 v14, v19
	;; [unrolled: 1-line block ×4, first 2 shown]
	v_add_u32_e32 v9, 0x400, v1
	v_add_u32_e32 v36, 0x800, v1
	;; [unrolled: 1-line block ×3, first 2 shown]
	v_pk_add_f32 v[38:39], v[14:15], v[16:17]
	v_pk_add_f32 v[34:35], v[18:19], v[12:13] neg_lo:[0,1] neg_hi:[0,1]
	s_waitcnt lgkmcnt(0)
	s_barrier
	ds_read2_b32 v[18:19], v1 offset0:108 offset1:216
	ds_read2_b32 v[12:13], v9 offset0:68 offset1:176
	;; [unrolled: 1-line block ×4, first 2 shown]
	ds_read_b32 v8, v44
	ds_read_b32 v10, v1 offset:3888
	v_pk_add_f32 v[6:7], v[20:21], v[26:27] neg_lo:[0,1] neg_hi:[0,1]
	v_mov_b32_e32 v39, v29
	s_waitcnt lgkmcnt(0)
	s_barrier
	ds_write2_b64 v31, v[32:33], v[38:39] offset1:1
	ds_write_b64 v31, v[34:35] offset:16
	s_and_saveexec_b64 s[4:5], s[2:3]
	s_cbranch_execz .LBB0_17
; %bb.16:
	v_mov_b32_e32 v30, v21
	v_mov_b32_e32 v33, v20
	;; [unrolled: 1-line block ×6, first 2 shown]
	v_pk_add_f32 v[20:21], v[30:31], v[20:21]
	v_pk_add_f32 v[22:23], v[22:23], v[24:25] neg_lo:[0,1] neg_hi:[0,1]
	v_pk_add_f32 v[26:27], v[32:33], v[34:35]
	v_add_u32_e32 v11, 0xa20, v31
	v_mov_b32_e32 v21, v23
	ds_write2_b64 v11, v[26:27], v[20:21] offset1:1
	ds_write_b64 v31, v[6:7] offset:2608
.LBB0_17:
	s_or_b64 exec, exec, s[4:5]
	s_movk_i32 s2, 0xab
	v_mul_lo_u16_sdwa v11, v0, s2 dst_sel:DWORD dst_unused:UNUSED_PAD src0_sel:BYTE_0 src1_sel:DWORD
	v_lshrrev_b16_e32 v37, 10, v11
	v_mul_lo_u16_e32 v11, 6, v37
	v_sub_u16_e32 v62, v0, v11
	v_mov_b32_e32 v11, 9
	v_mul_u32_u24_sdwa v11, v62, v11 dst_sel:DWORD dst_unused:UNUSED_PAD src0_sel:BYTE_0 src1_sel:DWORD
	v_lshlrev_b32_e32 v11, 3, v11
	s_waitcnt lgkmcnt(0)
	s_barrier
	global_load_dwordx4 v[20:23], v11, s[8:9]
	global_load_dwordx4 v[24:27], v11, s[8:9] offset:16
	global_load_dwordx4 v[30:33], v11, s[8:9] offset:32
	;; [unrolled: 1-line block ×3, first 2 shown]
	global_load_dwordx2 v[34:35], v11, s[8:9] offset:64
	ds_read_b32 v11, v44
	ds_read2_b32 v[42:43], v1 offset0:108 offset1:216
	ds_read2_b32 v[46:47], v9 offset0:68 offset1:176
	;; [unrolled: 1-line block ×4, first 2 shown]
	ds_read_b32 v28, v1 offset:3888
	s_mov_b32 s4, 0x3f737871
	s_mov_b32 s2, 0x3f167918
	;; [unrolled: 1-line block ×6, first 2 shown]
	s_waitcnt lgkmcnt(0)
	s_barrier
	s_waitcnt vmcnt(4)
	v_pk_mul_f32 v[52:53], v[18:19], v[20:21] op_sel_hi:[0,1]
	s_waitcnt vmcnt(3)
	v_pk_mul_f32 v[54:55], v[12:13], v[24:25] op_sel_hi:[0,1]
	;; [unrolled: 2-line block ×5, first 2 shown]
	v_mov_b32_e32 v12, v19
	v_mov_b32_e32 v18, v22
	;; [unrolled: 1-line block ×8, first 2 shown]
	v_pk_fma_f32 v[22:23], v[42:43], v[20:21], v[52:53] op_sel:[0,0,1] op_sel_hi:[0,1,0]
	v_pk_fma_f32 v[20:21], v[42:43], v[20:21], v[52:53] op_sel:[0,0,1] op_sel_hi:[0,1,0] neg_lo:[0,0,1] neg_hi:[0,0,1]
	v_pk_fma_f32 v[32:33], v[46:47], v[24:25], v[54:55] op_sel:[0,0,1] op_sel_hi:[0,1,0]
	v_pk_fma_f32 v[52:53], v[46:47], v[24:25], v[54:55] op_sel:[0,0,1] op_sel_hi:[0,1,0] neg_lo:[0,0,1] neg_hi:[0,0,1]
	v_pk_fma_f32 v[24:25], v[48:49], v[30:31], v[56:57] op_sel:[0,0,1] op_sel_hi:[0,1,0]
	v_pk_fma_f32 v[54:55], v[48:49], v[30:31], v[56:57] op_sel:[0,0,1] op_sel_hi:[0,1,0] neg_lo:[0,0,1] neg_hi:[0,0,1]
	v_pk_fma_f32 v[30:31], v[50:51], v[38:39], v[58:59] op_sel:[0,0,1] op_sel_hi:[0,1,0]
	v_pk_fma_f32 v[38:39], v[50:51], v[38:39], v[58:59] op_sel:[0,0,1] op_sel_hi:[0,1,0] neg_lo:[0,0,1] neg_hi:[0,0,1]
	v_pk_fma_f32 v[56:57], v[28:29], v[34:35], v[60:61] op_sel:[0,0,1] op_sel_hi:[0,1,0]
	v_pk_fma_f32 v[34:35], v[28:29], v[34:35], v[60:61] op_sel:[0,0,1] op_sel_hi:[0,1,0] neg_lo:[0,0,1] neg_hi:[0,0,1]
	v_mov_b32_e32 v46, v43
	v_pk_mul_f32 v[28:29], v[12:13], v[26:27]
	v_mov_b32_e32 v50, v49
	v_mov_b32_e32 v55, v25
	;; [unrolled: 1-line block ×3, first 2 shown]
	v_pk_mul_f32 v[42:43], v[14:15], v[40:41]
	v_mov_b32_e32 v21, v23
	v_mov_b32_e32 v53, v33
	;; [unrolled: 1-line block ×3, first 2 shown]
	v_pk_mul_f32 v[22:23], v[46:47], v[26:27]
	v_pk_fma_f32 v[28:29], v[46:47], v[18:19], v[28:29] neg_lo:[0,0,1] neg_hi:[0,0,1]
	v_pk_mul_f32 v[26:27], v[50:51], v[40:41]
	v_pk_add_f32 v[46:47], v[54:55], v[38:39]
	v_pk_fma_f32 v[24:25], v[50:51], v[16:17], v[42:43] neg_lo:[0,0,1] neg_hi:[0,0,1]
	v_pk_add_f32 v[32:33], v[20:21], v[52:53]
	v_pk_add_f32 v[42:43], v[52:53], v[34:35] neg_lo:[0,1] neg_hi:[0,1]
	v_pk_add_f32 v[56:57], v[52:53], v[34:35]
	v_pk_fma_f32 v[30:31], v[12:13], v[18:19], v[22:23]
	v_pk_fma_f32 v[26:27], v[14:15], v[16:17], v[26:27]
	v_pk_fma_f32 v[14:15], v[46:47], 0.5, v[20:21] op_sel_hi:[1,0,1] neg_lo:[1,0,0] neg_hi:[1,0,0]
	v_pk_add_f32 v[40:41], v[54:55], v[38:39] neg_lo:[0,1] neg_hi:[0,1]
	v_pk_add_f32 v[48:49], v[52:53], v[54:55] neg_lo:[0,1] neg_hi:[0,1]
	;; [unrolled: 1-line block ×3, first 2 shown]
	v_pk_add_f32 v[12:13], v[32:33], v[54:55]
	v_pk_fma_f32 v[18:19], v[56:57], 0.5, v[20:21] op_sel_hi:[1,0,1] neg_lo:[1,0,0] neg_hi:[1,0,0]
	v_add_f32_e32 v9, v8, v30
	v_pk_fma_f32 v[32:33], v[42:43], s[4:5], v[14:15] op_sel:[1,0,0] op_sel_hi:[0,0,1]
	v_pk_fma_f32 v[14:15], v[42:43], s[4:5], v[14:15] op_sel:[1,0,0] op_sel_hi:[0,0,1] neg_lo:[1,0,0] neg_hi:[1,0,0]
	v_pk_add_f32 v[58:59], v[38:39], v[34:35] neg_lo:[0,1] neg_hi:[0,1]
	v_pk_add_f32 v[16:17], v[48:49], v[50:51]
	v_pk_add_f32 v[12:13], v[12:13], v[38:39]
	v_pk_fma_f32 v[38:39], v[40:41], s[4:5], v[18:19] op_sel:[1,0,0] op_sel_hi:[0,0,1] neg_lo:[1,0,0] neg_hi:[1,0,0]
	v_add_f32_e32 v9, v9, v31
	v_pk_fma_f32 v[14:15], v[40:41], s[2:3], v[14:15] op_sel:[1,0,0] op_sel_hi:[0,0,1] neg_lo:[1,0,0] neg_hi:[1,0,0]
	v_pk_add_f32 v[52:53], v[54:55], v[52:53] neg_lo:[0,1] neg_hi:[0,1]
	v_pk_add_f32 v[22:23], v[12:13], v[34:35]
	v_pk_fma_f32 v[12:13], v[40:41], s[2:3], v[32:33] op_sel:[1,0,0] op_sel_hi:[0,0,1]
	v_pk_fma_f32 v[32:33], v[42:43], s[2:3], v[38:39] op_sel:[1,0,0] op_sel_hi:[0,0,1]
	v_add_f32_e32 v9, v9, v26
	v_pk_fma_f32 v[38:39], v[16:17], s[6:7], v[14:15] op_sel_hi:[1,0,1]
	v_pk_add_f32 v[14:15], v[30:31], v[26:27] op_sel:[1,0] op_sel_hi:[0,1]
	v_pk_add_f32 v[20:21], v[52:53], v[58:59]
	v_pk_fma_f32 v[18:19], v[40:41], s[4:5], v[18:19] op_sel:[1,0,0] op_sel_hi:[0,0,1]
	v_pk_fma_f32 v[34:35], v[16:17], s[6:7], v[12:13] op_sel_hi:[1,0,1]
	v_add_f32_e32 v10, v9, v27
	v_pk_add_f32 v[12:13], v[28:29], v[24:25] op_sel:[0,1] op_sel_hi:[1,0] neg_lo:[0,1] neg_hi:[0,1]
	v_pk_fma_f32 v[8:9], v[14:15], 0.5, v[8:9] op_sel_hi:[1,0,0] neg_lo:[1,0,0] neg_hi:[1,0,0]
	v_pk_add_f32 v[14:15], v[30:31], v[30:31] op_sel:[0,1] op_sel_hi:[1,0] neg_lo:[0,1] neg_hi:[0,1]
	v_pk_add_f32 v[16:17], v[26:27], v[26:27] op_sel:[0,1] op_sel_hi:[1,0] neg_lo:[0,1] neg_hi:[0,1]
	v_pk_fma_f32 v[18:19], v[42:43], s[2:3], v[18:19] op_sel:[1,0,0] op_sel_hi:[0,0,1] neg_lo:[1,0,0] neg_hi:[1,0,0]
	v_pk_fma_f32 v[32:33], v[20:21], s[6:7], v[32:33] op_sel_hi:[1,0,1]
	v_pk_add_f32 v[14:15], v[14:15], v[16:17] op_sel:[1,0] op_sel_hi:[0,1]
	v_pk_fma_f32 v[16:17], v[12:13], s[4:5], v[8:9] op_sel_hi:[1,0,1]
	v_pk_fma_f32 v[8:9], v[12:13], s[4:5], v[8:9] op_sel_hi:[1,0,1] neg_lo:[1,0,0] neg_hi:[1,0,0]
	v_pk_fma_f32 v[40:41], v[20:21], s[6:7], v[18:19] op_sel_hi:[1,0,1]
	v_mov_b32_e32 v18, v9
	v_mov_b32_e32 v19, v16
	s_mov_b32 s5, s2
	v_mov_b32_e32 v48, v32
	v_mov_b32_e32 v49, v34
	;; [unrolled: 1-line block ×4, first 2 shown]
	v_pk_fma_f32 v[18:19], v[12:13], s[2:3], v[18:19] op_sel_hi:[1,0,1]
	v_mov_b32_e32 v42, v40
	v_mov_b32_e32 v43, v38
	;; [unrolled: 1-line block ×4, first 2 shown]
	v_pk_mul_f32 v[48:49], v[48:49], s[4:5]
	v_pk_fma_f32 v[8:9], v[12:13], s[2:3], v[16:17] op_sel_hi:[1,0,1] neg_lo:[1,0,0] neg_hi:[1,0,0]
	s_movk_i32 s2, 0xf0
	v_mov_b32_e32 v17, 2
	v_mov_b32_e32 v20, v33
	;; [unrolled: 1-line block ×3, first 2 shown]
	v_pk_mul_f32 v[42:43], v[42:43], s[4:5]
	v_pk_fma_f32 v[46:47], v[46:47], s[6:7], v[48:49] neg_lo:[0,0,1] neg_hi:[0,0,1]
	v_pk_fma_f32 v[8:9], v[14:15], s[6:7], v[8:9] op_sel_hi:[1,0,1]
	v_mad_u32_u24 v16, v37, s2, 0
	v_lshlrev_b32_sdwa v17, v17, v62 dst_sel:DWORD dst_unused:UNUSED_PAD src0_sel:DWORD src1_sel:BYTE_0
	v_pk_fma_f32 v[18:19], v[14:15], s[6:7], v[18:19] op_sel_hi:[1,0,1]
	v_add_f32_e32 v50, v10, v23
	v_pk_fma_f32 v[20:21], v[20:21], s[10:11], v[42:43] neg_lo:[0,0,1] neg_hi:[0,0,1]
	v_sub_f32_e32 v10, v10, v23
	v_pk_add_f32 v[14:15], v[8:9], v[46:47]
	v_add3_u32 v23, v16, v17, v45
	v_pk_add_f32 v[42:43], v[18:19], v[20:21]
	v_pk_add_f32 v[8:9], v[8:9], v[46:47] neg_lo:[0,1] neg_hi:[0,1]
	v_pk_add_f32 v[12:13], v[18:19], v[20:21] neg_lo:[0,1] neg_hi:[0,1]
	ds_write2_b32 v23, v50, v15 offset1:6
	ds_write2_b32 v23, v14, v42 offset0:12 offset1:18
	ds_write2_b32 v23, v43, v10 offset0:24 offset1:30
	;; [unrolled: 1-line block ×4, first 2 shown]
	v_add_u32_e32 v10, 0x200, v1
	s_waitcnt lgkmcnt(0)
	s_barrier
	ds_read2_b32 v[20:21], v10 offset0:52 offset1:232
	ds_read2_b32 v[18:19], v36 offset0:28 offset1:208
	ds_read_b32 v15, v44
	ds_read_b32 v46, v1 offset:3600
	v_mov_b32_e32 v36, v25
	v_mov_b32_e32 v37, v24
                                        ; implicit-def: $vgpr14
                                        ; implicit-def: $vgpr16_vgpr17
	s_and_saveexec_b64 s[2:3], vcc
	s_xor_b64 s[2:3], exec, s[2:3]
; %bb.18:
	v_mov_b32_e32 v14, v5
	v_mov_b64_e32 v[16:17], v[8:9]
; %bb.19:
	s_or_saveexec_b64 s[2:3], s[2:3]
	v_mov_b32_e32 v42, v39
	v_mov_b32_e32 v43, v38
	;; [unrolled: 1-line block ×5, first 2 shown]
	s_xor_b64 exec, exec, s[2:3]
	s_cbranch_execz .LBB0_21
; %bb.20:
	v_add_u32_e32 v4, 0x100, v1
	ds_read2_b32 v[8:9], v4 offset0:44 offset1:224
	v_add_u32_e32 v4, 0xc00, v1
	ds_read2_b32 v[4:5], v4 offset0:60 offset1:240
	;; [unrolled: 2-line block ×3, first 2 shown]
	s_waitcnt lgkmcnt(2)
	v_mov_b32_e32 v16, v9
	v_mov_b32_e32 v17, v8
	s_waitcnt lgkmcnt(1)
	v_mov_b32_e32 v14, v5
	v_mov_b32_e32 v9, v8
.LBB0_21:
	s_or_b64 exec, exec, s[2:3]
	s_mov_b32 s3, 0x3f167918
	s_mov_b32 s2, 0x3f4f1bbd
	;; [unrolled: 1-line block ×4, first 2 shown]
	v_pk_mul_f32 v[40:41], v[42:43], s[4:5]
	s_mov_b32 s4, 0x3e9e377a
	s_mov_b32 s5, 0x3f737871
	;; [unrolled: 1-line block ×4, first 2 shown]
	v_pk_mul_f32 v[38:39], v[38:39], s[6:7]
	v_add_f32_e32 v5, v11, v28
	v_pk_fma_f32 v[42:43], v[34:35], s[2:3], v[40:41] neg_lo:[0,0,1] neg_hi:[0,0,1]
	v_pk_fma_f32 v[34:35], v[34:35], s[2:3], v[40:41]
	v_pk_fma_f32 v[40:41], v[32:33], s[4:5], v[38:39] neg_lo:[0,0,1] neg_hi:[0,0,1]
	v_pk_fma_f32 v[32:33], v[32:33], s[4:5], v[38:39]
	v_add_f32_e32 v5, v5, v29
	v_pk_add_f32 v[38:39], v[28:29], v[36:37]
	v_add_f32_e32 v5, v5, v24
	v_mul_f32_e32 v40, 0.5, v39
	v_mov_b32_e32 v24, v28
	v_mov_b32_e32 v36, v29
	v_add_f32_e32 v5, v5, v25
	v_mov_b32_e32 v8, v27
	v_pk_add_f32 v[28:29], v[24:25], v[36:37] neg_lo:[0,1] neg_hi:[0,1]
	v_pk_add_f32 v[24:25], v[36:37], v[24:25] neg_lo:[0,1] neg_hi:[0,1]
	v_mov_b32_e32 v27, v40
	v_pk_add_f32 v[30:31], v[30:31], v[8:9] neg_lo:[0,1] neg_hi:[0,1]
	v_add_f32_e32 v24, v24, v25
	v_mov_b32_e32 v25, v11
	v_pk_add_f32 v[10:11], v[10:11], v[26:27] neg_lo:[0,1] neg_hi:[0,1]
	s_mov_b32 s2, s3
	v_mul_f32_e32 v39, 0x3f737871, v30
	v_fmac_f32_e32 v25, -0.5, v38
	v_mov_b32_e32 v38, 0x3f167918
	v_pk_mul_f32 v[36:37], v[10:11], s[2:3]
	v_add_f32_e32 v8, v28, v29
	v_fmamk_f32 v26, v30, 0x3f737871, v11
	v_pk_add_f32 v[28:29], v[10:11], v[38:39] neg_lo:[0,1] neg_hi:[0,1]
	v_mov_b32_e32 v27, v36
	v_pk_add_f32 v[28:29], v[28:29], v[26:27] neg_lo:[0,1] neg_hi:[0,1]
	v_pk_fma_f32 v[26:27], v[10:11], v[38:39], v[26:27]
	v_mov_b32_e32 v11, v30
	s_mov_b32 s2, s5
	v_mul_f32_e32 v8, 0x3e9e377a, v8
	v_mov_b32_e32 v27, v29
	v_pk_mul_f32 v[10:11], v[10:11], s[2:3]
	v_pk_add_f32 v[26:27], v[8:9], v[26:27] op_sel_hi:[0,1]
	v_sub_f32_e32 v8, v25, v10
	v_add_f32_e32 v28, v11, v8
	v_add_f32_e32 v8, v10, v25
	v_mov_b32_e32 v35, v43
	v_mul_f32_e32 v24, 0x3e9e377a, v24
	v_sub_f32_e32 v29, v8, v11
	v_mov_b32_e32 v33, v41
	v_add_f32_e32 v8, v5, v22
	v_pk_add_f32 v[30:31], v[26:27], v[34:35]
	v_pk_add_f32 v[10:11], v[24:25], v[28:29] op_sel_hi:[0,1]
	v_sub_f32_e32 v5, v5, v22
	v_pk_add_f32 v[28:29], v[10:11], v[32:33]
	v_pk_add_f32 v[24:25], v[10:11], v[32:33] neg_lo:[0,1] neg_hi:[0,1]
	v_pk_add_f32 v[10:11], v[26:27], v[34:35] neg_lo:[0,1] neg_hi:[0,1]
	s_waitcnt lgkmcnt(0)
	s_barrier
	ds_write2_b32 v23, v8, v30 offset1:6
	ds_write2_b32 v23, v28, v29 offset0:12 offset1:18
	ds_write2_b32 v23, v31, v5 offset0:24 offset1:30
	;; [unrolled: 1-line block ×4, first 2 shown]
	v_add_u32_e32 v5, 0x200, v1
	s_waitcnt lgkmcnt(0)
	s_barrier
	ds_read2_b32 v[30:31], v5 offset0:52 offset1:232
	v_add_u32_e32 v5, 0x800, v1
	ds_read2_b32 v[28:29], v5 offset0:28 offset1:208
	ds_read_b32 v32, v44
	ds_read_b32 v5, v1 offset:3600
                                        ; implicit-def: $vgpr26_vgpr27
                                        ; implicit-def: $vgpr22_vgpr23
	s_and_saveexec_b64 s[2:3], vcc
	s_xor_b64 s[2:3], exec, s[2:3]
; %bb.22:
	v_mov_b64_e32 v[26:27], v[24:25]
	v_mov_b64_e32 v[22:23], v[10:11]
; %bb.23:
	s_andn2_saveexec_b64 s[2:3], s[2:3]
	s_cbranch_execz .LBB0_25
; %bb.24:
	v_add_u32_e32 v6, 0x100, v1
	ds_read2_b32 v[10:11], v6 offset0:44 offset1:224
	v_add_u32_e32 v6, 0x700, v1
	ds_read2_b32 v[24:25], v6 offset0:20 offset1:200
	;; [unrolled: 2-line block ×3, first 2 shown]
	s_waitcnt lgkmcnt(2)
	v_mov_b32_e32 v22, v10
	v_mov_b32_e32 v26, v11
	s_waitcnt lgkmcnt(1)
	v_mov_b32_e32 v23, v25
	v_mov_b32_e32 v27, v24
	;; [unrolled: 1-line block ×3, first 2 shown]
.LBB0_25:
	s_or_b64 exec, exec, s[2:3]
	v_subrev_u32_e32 v8, 60, v0
	v_cmp_gt_u32_e64 s[2:3], 60, v0
	v_mov_b32_e32 v35, 0
	s_nop 0
	v_cndmask_b32_e64 v62, v8, v0, s[2:3]
	v_mul_i32_i24_e32 v34, 5, v62
	v_lshl_add_u64 v[34:35], v[34:35], 3, s[8:9]
	global_load_dwordx4 v[38:41], v[34:35], off offset:432
	global_load_dwordx4 v[48:51], v[34:35], off offset:448
	global_load_dwordx2 v[42:43], v[34:35], off offset:464
	v_add_u32_e32 v34, 0x6c, v0
	s_movk_i32 s2, 0x89
	v_mul_lo_u16_sdwa v11, v34, s2 dst_sel:DWORD dst_unused:UNUSED_PAD src0_sel:BYTE_0 src1_sel:DWORD
	v_lshrrev_b16_e32 v35, 13, v11
	v_mul_lo_u16_e32 v11, 60, v35
	v_mov_b32_e32 v8, 5
	v_sub_u16_e32 v36, v34, v11
	v_mul_u32_u24_sdwa v8, v36, v8 dst_sel:DWORD dst_unused:UNUSED_PAD src0_sel:BYTE_0 src1_sel:DWORD
	v_lshlrev_b32_e32 v8, 3, v8
	global_load_dwordx4 v[52:55], v8, s[8:9] offset:432
	global_load_dwordx4 v[56:59], v8, s[8:9] offset:448
	global_load_dwordx2 v[60:61], v8, s[8:9] offset:464
	s_mov_b32 s2, 0x3f5db3d7
	s_waitcnt lgkmcnt(0)
	s_barrier
	s_waitcnt vmcnt(5)
	v_mul_f32_e32 v8, v20, v39
	v_mul_f32_e32 v33, v31, v41
	;; [unrolled: 1-line block ×4, first 2 shown]
	v_fmac_f32_e32 v33, v21, v40
	s_waitcnt vmcnt(4)
	v_mul_f32_e32 v21, v18, v49
	v_fma_f32 v37, v30, v38, -v8
	v_fma_f32 v40, v31, v40, -v24
	s_waitcnt vmcnt(3)
	v_mul_f32_e32 v24, v5, v43
	v_mul_f32_e32 v30, v46, v43
	v_fmac_f32_e32 v11, v20, v38
	v_mul_f32_e32 v20, v28, v49
	v_mul_f32_e32 v8, v19, v51
	v_fma_f32 v38, v28, v48, -v21
	v_fmac_f32_e32 v24, v46, v42
	v_fma_f32 v42, v5, v42, -v30
	v_mul_f32_e32 v39, v29, v51
	v_fmac_f32_e32 v20, v18, v48
	v_fma_f32 v43, v29, v50, -v8
	v_add_f32_e32 v29, v38, v42
	v_fmac_f32_e32 v39, v19, v50
	v_add_f32_e32 v28, v20, v24
	v_sub_f32_e32 v31, v20, v24
	v_fma_f32 v46, -0.5, v29, v37
	v_add_f32_e32 v5, v15, v33
	v_add_f32_e32 v8, v33, v39
	;; [unrolled: 1-line block ×3, first 2 shown]
	v_sub_f32_e32 v30, v38, v42
	s_waitcnt vmcnt(2)
	v_mul_f32_e32 v41, v25, v55
	s_waitcnt vmcnt(1)
	v_mul_f32_e32 v19, v6, v59
	v_fmac_f32_e32 v11, -0.5, v28
	v_fmamk_f32 v50, v31, 0x3f5db3d7, v46
	v_fmac_f32_e32 v46, 0xbf5db3d7, v31
	v_sub_f32_e32 v18, v40, v43
	v_mul_f32_e32 v47, v12, v55
	v_mul_f32_e32 v48, v4, v59
	v_add_f32_e32 v5, v5, v39
	v_fmac_f32_e32 v15, -0.5, v8
	v_add_f32_e32 v8, v21, v24
	v_pk_mul_f32 v[20:21], v[26:27], v[52:53] op_sel_hi:[0,1]
	v_pk_mul_f32 v[28:29], v[12:13], v[56:57] op_sel:[1,0]
	v_fmac_f32_e32 v41, v12, v54
	v_fmac_f32_e32 v19, v4, v58
	v_fmamk_f32 v49, v30, 0xbf5db3d7, v11
	v_fmac_f32_e32 v11, 0x3f5db3d7, v30
	v_mul_f32_e32 v13, 0xbf5db3d7, v46
	v_fma_f32 v47, v25, v54, -v47
	v_fma_f32 v48, v6, v58, -v48
	v_fmamk_f32 v12, v18, 0xbf5db3d7, v15
	v_fmac_f32_e32 v15, 0x3f5db3d7, v18
	v_add_f32_e32 v51, v5, v8
	v_sub_f32_e32 v54, v5, v8
	v_pk_fma_f32 v[4:5], v[16:17], v[52:53], v[20:21] op_sel:[0,0,1] op_sel_hi:[1,1,0]
	v_pk_fma_f32 v[24:25], v[16:17], v[52:53], v[20:21] op_sel:[0,0,1] op_sel_hi:[0,1,0] neg_lo:[1,0,0] neg_hi:[1,0,0]
	v_add_f32_e32 v16, v41, v19
	v_fmac_f32_e32 v13, -0.5, v11
	v_add_f32_e32 v17, v9, v41
	v_sub_f32_e32 v20, v47, v48
	v_fmac_f32_e32 v9, -0.5, v16
	v_add_f32_e32 v52, v15, v13
	v_sub_f32_e32 v55, v15, v13
	s_waitcnt vmcnt(0)
	v_pk_mul_f32 v[14:15], v[14:15], v[60:61] op_sel_hi:[0,1]
	v_mul_f32_e32 v18, 0x3f5db3d7, v20
	v_mov_b32_e32 v16, v9
	v_fmac_f32_e32 v9, 0x3f5db3d7, v20
	v_pk_fma_f32 v[26:27], v[22:23], v[56:57], v[28:29] op_sel:[1,0,1] op_sel_hi:[1,1,0] neg_lo:[0,0,1] neg_hi:[0,0,1]
	v_pk_fma_f32 v[20:21], v[22:23], v[56:57], v[28:29] op_sel:[1,0,1] op_sel_hi:[1,1,0]
	v_pk_fma_f32 v[22:23], v[6:7], v[60:61], v[14:15] op_sel:[1,0,1] op_sel_hi:[1,1,0] neg_lo:[0,0,1] neg_hi:[0,0,1]
	v_pk_fma_f32 v[6:7], v[6:7], v[60:61], v[14:15] op_sel:[1,0,1] op_sel_hi:[1,1,0]
	v_mov_b32_e32 v5, v25
	v_mov_b32_e32 v6, v21
	;; [unrolled: 1-line block ×4, first 2 shown]
	v_pk_add_f32 v[14:15], v[4:5], v[6:7]
	v_mov_b32_e32 v6, v7
	v_pk_add_f32 v[14:15], v[14:15], v[6:7]
	v_pk_add_f32 v[6:7], v[26:27], v[22:23]
	v_mul_f32_e32 v8, 0xbf5db3d7, v50
	v_pk_mul_f32 v[6:7], v[6:7], 0.5 op_sel_hi:[1,0]
	v_fmac_f32_e32 v8, 0.5, v49
	v_pk_add_f32 v[4:5], v[4:5], v[6:7] op_sel:[0,1] op_sel_hi:[1,0] neg_lo:[0,1] neg_hi:[0,1]
	v_pk_add_f32 v[6:7], v[26:27], v[22:23] neg_lo:[0,1] neg_hi:[0,1]
	v_add_f32_e32 v24, v12, v8
	v_pk_fma_f32 v[28:29], v[6:7], s[2:3], v[4:5] op_sel_hi:[1,0,1]
	v_pk_fma_f32 v[30:31], v[6:7], s[2:3], v[4:5] op_sel_hi:[1,0,1] neg_lo:[1,0,0] neg_hi:[1,0,0]
	v_mov_b32_e32 v6, 0x5a0
	v_cmp_lt_u32_e64 s[2:3], 59, v0
	v_sub_f32_e32 v53, v12, v8
	v_pk_add_f32 v[12:13], v[16:17], v[18:19] neg_lo:[0,1] neg_hi:[0,1]
	v_cndmask_b32_e64 v6, 0, v6, s[2:3]
	v_pk_add_f32 v[16:17], v[16:17], v[18:19]
	v_mul_f32_e32 v20, 0xbf5db3d7, v29
	v_add_u32_e32 v6, 0, v6
	v_lshlrev_b32_e32 v7, 2, v62
	v_mov_b32_e32 v13, v17
	v_fmac_f32_e32 v20, 0.5, v30
	v_mul_f32_e32 v8, 0xbf5db3d7, v31
	v_mov_b32_e32 v21, v14
	v_add3_u32 v7, v6, v7, v45
	v_fmac_f32_e32 v8, -0.5, v28
	v_pk_add_f32 v[4:5], v[12:13], v[20:21] neg_lo:[0,1] neg_hi:[0,1]
	v_add_u32_e32 v6, 0x200, v7
	ds_write2_b32 v7, v51, v24 offset1:60
	ds_write2_b32 v7, v52, v54 offset0:120 offset1:180
	ds_write2_b32 v6, v53, v55 offset0:112 offset1:172
	s_and_saveexec_b64 s[2:3], vcc
	s_xor_b64 s[2:3], exec, s[2:3]
; %bb.26:
                                        ; implicit-def: $vgpr12_vgpr13
                                        ; implicit-def: $vgpr20
                                        ; implicit-def: $vgpr16_vgpr17
                                        ; implicit-def: $vgpr14_vgpr15
; %bb.27:
	s_or_saveexec_b64 s[2:3], s[2:3]
	v_sub_f32_e32 v6, v9, v8
	s_xor_b64 exec, exec, s[2:3]
	s_cbranch_execz .LBB0_29
; %bb.28:
	v_add_f32_e32 v8, v9, v8
	v_add_f32_e32 v9, v12, v20
	;; [unrolled: 1-line block ×3, first 2 shown]
	s_movk_i32 s4, 0x5a0
	v_mov_b32_e32 v14, 2
	v_mad_u32_u24 v13, v35, s4, 0
	v_lshlrev_b32_sdwa v14, v14, v36 dst_sel:DWORD dst_unused:UNUSED_PAD src0_sel:DWORD src1_sel:BYTE_0
	v_add3_u32 v13, v13, v14, v45
	ds_write2_b32 v13, v12, v9 offset1:60
	ds_write2_b32 v13, v8, v5 offset0:120 offset1:180
	v_add_u32_e32 v8, 0x200, v13
	ds_write2_b32 v8, v4, v6 offset0:112 offset1:172
.LBB0_29:
	s_or_b64 exec, exec, s[2:3]
	v_add_u32_e32 v9, 0x400, v1
	s_waitcnt lgkmcnt(0)
	s_barrier
	ds_read2_b32 v[12:13], v9 offset0:104 offset1:212
	v_add_u32_e32 v9, 0x800, v1
	ds_read_b32 v8, v44
	ds_read2_b32 v[14:15], v9 offset0:64 offset1:208
	ds_read2_b32 v[20:21], v1 offset0:108 offset1:216
	v_add_u32_e32 v9, 0xc00, v1
	ds_read2_b32 v[16:17], v9 offset0:60 offset1:168
	v_cmp_gt_u32_e64 s[2:3], 36, v0
	v_cmp_lt_u32_e64 s[4:5], 35, v0
	s_and_saveexec_b64 s[6:7], s[4:5]
	s_xor_b64 s[6:7], exec, s[6:7]
	s_andn2_saveexec_b64 s[6:7], s[6:7]
	s_cbranch_execz .LBB0_31
; %bb.30:
	ds_read_b32 v5, v1 offset:1296
	ds_read_b32 v4, v1 offset:2736
	;; [unrolled: 1-line block ×3, first 2 shown]
.LBB0_31:
	s_or_b64 exec, exec, s[6:7]
	v_add_f32_e32 v18, v40, v43
	v_add_f32_e32 v9, v32, v40
	v_fmac_f32_e32 v32, -0.5, v18
	v_sub_f32_e32 v18, v33, v39
	v_add_f32_e32 v24, v37, v38
	v_mul_f32_e32 v33, -0.5, v46
	v_add_f32_e32 v9, v9, v43
	v_add_f32_e32 v24, v24, v42
	v_fmac_f32_e32 v33, 0x3f5db3d7, v11
	v_add_f32_e32 v11, v47, v48
	v_fmamk_f32 v23, v18, 0x3f5db3d7, v32
	v_fmamk_f32 v18, v18, 0xbf5db3d7, v32
	v_add_f32_e32 v27, v9, v24
	v_mul_f32_e32 v32, 0.5, v50
	v_sub_f32_e32 v24, v9, v24
	v_add_f32_e32 v9, v10, v47
	v_fmac_f32_e32 v10, -0.5, v11
	v_sub_f32_e32 v11, v41, v19
	v_fmac_f32_e32 v32, 0x3f5db3d7, v49
	v_add_f32_e32 v38, v18, v33
	v_sub_f32_e32 v40, v18, v33
	v_mul_f32_e32 v18, 0x3f5db3d7, v11
	s_mov_b32 s6, 0x3f5db3d7
	v_add_f32_e32 v37, v23, v32
	v_sub_f32_e32 v39, v23, v32
	v_pk_add_f32 v[32:33], v[10:11], v[18:19] neg_lo:[0,1] neg_hi:[0,1]
	v_pk_add_f32 v[10:11], v[10:11], v[18:19]
	s_mov_b32 s7, 0.5
	v_mov_b32_e32 v33, v10
	v_add_f32_e32 v10, v25, v26
	v_add_f32_e32 v18, v10, v22
	v_pk_mul_f32 v[10:11], v[30:31], s[6:7]
	v_add_f32_e32 v9, v9, v48
	v_pk_fma_f32 v[22:23], v[28:29], s[6:7], v[10:11] op_sel:[0,0,1] op_sel_hi:[1,1,0] neg_lo:[0,0,1] neg_hi:[0,0,1]
	v_pk_fma_f32 v[10:11], v[28:29], s[6:7], v[10:11] op_sel:[0,0,1] op_sel_hi:[1,1,0]
	s_waitcnt lgkmcnt(0)
	v_mov_b32_e32 v23, v11
	v_pk_add_f32 v[10:11], v[32:33], v[22:23] neg_lo:[0,1] neg_hi:[0,1]
	s_barrier
	ds_write2_b32 v7, v27, v37 offset1:60
	ds_write2_b32 v7, v38, v24 offset0:120 offset1:180
	v_add_u32_e32 v7, 0x200, v7
	ds_write2_b32 v7, v39, v40 offset0:112 offset1:172
	s_and_saveexec_b64 s[6:7], vcc
	s_xor_b64 s[6:7], exec, s[6:7]
; %bb.32:
                                        ; implicit-def: $vgpr32_vgpr33
                                        ; implicit-def: $vgpr22_vgpr23
                                        ; implicit-def: $vgpr35
                                        ; implicit-def: $vgpr36
                                        ; implicit-def: $vgpr45
; %bb.33:
	s_or_saveexec_b64 s[6:7], s[6:7]
	v_sub_f32_e32 v19, v9, v18
	s_xor_b64 exec, exec, s[6:7]
	s_cbranch_execz .LBB0_35
; %bb.34:
	v_add_f32_e32 v7, v9, v18
	s_movk_i32 s10, 0x5a0
	v_mov_b32_e32 v18, 2
	v_mad_u32_u24 v9, v35, s10, 0
	v_lshlrev_b32_sdwa v18, v18, v36 dst_sel:DWORD dst_unused:UNUSED_PAD src0_sel:DWORD src1_sel:BYTE_0
	v_pk_add_f32 v[22:23], v[32:33], v[22:23]
	v_add3_u32 v9, v9, v18, v45
	ds_write2_b32 v9, v7, v23 offset1:60
	ds_write2_b32 v9, v22, v19 offset0:120 offset1:180
	v_add_u32_e32 v7, 0x200, v9
	ds_write2_b32 v7, v11, v10 offset0:112 offset1:172
.LBB0_35:
	s_or_b64 exec, exec, s[6:7]
	v_add_u32_e32 v7, 0x400, v1
	s_waitcnt lgkmcnt(0)
	s_barrier
	ds_read2_b32 v[26:27], v7 offset0:104 offset1:212
	v_add_u32_e32 v7, 0x800, v1
	ds_read_b32 v9, v44
	ds_read2_b32 v[28:29], v7 offset0:64 offset1:208
	ds_read2_b32 v[22:23], v1 offset0:108 offset1:216
	v_add_u32_e32 v7, 0xc00, v1
	ds_read2_b32 v[30:31], v7 offset0:60 offset1:168
	s_and_saveexec_b64 s[6:7], s[4:5]
	s_xor_b64 s[4:5], exec, s[6:7]
	s_cbranch_execnz .LBB0_39
; %bb.36:
	s_andn2_saveexec_b64 s[4:5], s[4:5]
	s_cbranch_execnz .LBB0_40
.LBB0_37:
	s_or_b64 exec, exec, s[4:5]
	s_and_saveexec_b64 s[4:5], s[0:1]
	s_cbranch_execnz .LBB0_41
.LBB0_38:
	s_endpgm
.LBB0_39:
                                        ; implicit-def: $vgpr1
	s_andn2_saveexec_b64 s[4:5], s[4:5]
	s_cbranch_execz .LBB0_37
.LBB0_40:
	ds_read_b32 v19, v1 offset:1296
	ds_read_b32 v11, v1 offset:2736
	;; [unrolled: 1-line block ×3, first 2 shown]
	s_or_b64 exec, exec, s[4:5]
	s_and_saveexec_b64 s[4:5], s[0:1]
	s_cbranch_execz .LBB0_38
.LBB0_41:
	v_add_u32_e32 v7, 0xd8, v0
	v_lshlrev_b32_e32 v24, 1, v7
	v_mov_b32_e32 v25, 0
	v_lshl_add_u64 v[36:37], v[24:25], 3, s[8:9]
	v_lshlrev_b32_e32 v24, 1, v34
	v_lshl_add_u64 v[32:33], v[24:25], 3, s[8:9]
	v_lshlrev_b32_e32 v24, 1, v0
	v_lshl_add_u64 v[40:41], v[24:25], 3, s[8:9]
	global_load_dwordx4 v[32:35], v[32:33], off offset:2832
	s_waitcnt lgkmcnt(2)
	v_mov_b32_e32 v18, v29
	global_load_dwordx4 v[36:39], v[36:37], off offset:2832
	v_mov_b32_e32 v48, v27
	global_load_dwordx4 v[40:43], v[40:41], off offset:2832
	v_mov_b32_e32 v44, v15
	v_mov_b32_e32 v46, v15
	;; [unrolled: 1-line block ×5, first 2 shown]
	s_waitcnt lgkmcnt(0)
	v_mov_b32_e32 v20, v31
	v_mov_b32_e32 v56, v17
	;; [unrolled: 1-line block ×4, first 2 shown]
	s_mov_b32 s0, 0x3f5db3d7
	s_movk_i32 s1, 0x1000
	s_mov_b32 s6, 0x16c16c17
	v_mov_b32_e32 v1, v25
	v_lshrrev_b32_e32 v7, 3, v7
	v_mov_b32_e32 v22, v21
	v_lshl_add_u64 v[2:3], v[0:1], 3, v[2:3]
	v_mul_hi_u32 v1, v7, s6
	v_lshrrev_b32_e32 v1, 2, v1
	v_add_co_u32_e32 v60, vcc, s1, v2
	v_mul_u32_u24_e32 v24, 0x2d0, v1
	s_nop 0
	v_addc_co_u32_e32 v61, vcc, 0, v3, vcc
	v_lshl_add_u64 v[62:63], v[24:25], 3, v[2:3]
	s_mov_b64 s[4:5], 0x6c0
	v_lshl_add_u64 v[64:65], v[62:63], 0, s[4:5]
	s_waitcnt vmcnt(2)
	v_pk_mul_f32 v[48:49], v[48:49], v[32:33] op_sel_hi:[0,1]
	v_pk_mul_f32 v[30:31], v[30:31], v[34:35] op_sel_hi:[0,1]
	s_waitcnt vmcnt(1)
	v_pk_mul_f32 v[28:29], v[28:29], v[36:37] op_sel_hi:[0,1]
	v_pk_fma_f32 v[50:51], v[50:51], v[32:33], v[48:49] op_sel:[0,0,1] op_sel_hi:[1,1,0]
	s_waitcnt vmcnt(0)
	v_pk_mul_f32 v[26:27], v[26:27], v[40:41] op_sel_hi:[0,1]
	v_pk_mul_f32 v[66:67], v[18:19], v[42:43] op_sel_hi:[0,1]
	v_pk_fma_f32 v[32:33], v[52:53], v[32:33], v[48:49] op_sel:[0,0,1] op_sel_hi:[0,1,0] neg_lo:[1,0,0] neg_hi:[1,0,0]
	v_pk_fma_f32 v[48:49], v[16:17], v[34:35], v[30:31] op_sel:[0,0,1] op_sel_hi:[1,1,0]
	v_pk_fma_f32 v[16:17], v[16:17], v[34:35], v[30:31] op_sel:[0,0,1] op_sel_hi:[0,1,0] neg_lo:[1,0,0] neg_hi:[1,0,0]
	v_pk_fma_f32 v[30:31], v[14:15], v[36:37], v[28:29] op_sel:[0,0,1] op_sel_hi:[1,1,0]
	;; [unrolled: 2-line block ×4, first 2 shown]
	v_pk_fma_f32 v[36:37], v[46:47], v[42:43], v[66:67] op_sel:[0,0,1] op_sel_hi:[0,1,0] neg_lo:[1,0,0] neg_hi:[1,0,0]
	v_mov_b32_e32 v51, v33
	v_mov_b32_e32 v49, v17
	;; [unrolled: 1-line block ×5, first 2 shown]
	v_pk_add_f32 v[12:13], v[54:55], v[50:51]
	v_pk_add_f32 v[14:15], v[50:51], v[48:49]
	v_pk_add_f32 v[16:17], v[50:51], v[48:49] neg_lo:[0,1] neg_hi:[0,1]
	v_pk_add_f32 v[32:33], v[8:9], v[34:35]
	v_pk_add_f32 v[36:37], v[34:35], v[26:27]
	v_pk_add_f32 v[34:35], v[34:35], v[26:27] neg_lo:[0,1] neg_hi:[0,1]
	v_pk_mul_f32 v[20:21], v[20:21], v[38:39] op_sel_hi:[0,1]
	v_pk_add_f32 v[12:13], v[12:13], v[48:49]
	v_pk_fma_f32 v[14:15], v[14:15], 0.5, v[54:55] op_sel_hi:[1,0,1] neg_lo:[1,0,0] neg_hi:[1,0,0]
	v_pk_mul_f32 v[16:17], v[16:17], s[0:1] op_sel_hi:[1,0]
	v_pk_add_f32 v[26:27], v[32:33], v[26:27]
	v_pk_fma_f32 v[8:9], v[36:37], 0.5, v[8:9] op_sel_hi:[1,0,1] neg_lo:[1,0,0] neg_hi:[1,0,0]
	v_pk_mul_f32 v[32:33], v[34:35], s[0:1] op_sel_hi:[1,0]
	v_pk_fma_f32 v[28:29], v[56:57], v[38:39], v[20:21] op_sel:[0,0,1] op_sel_hi:[1,1,0]
	v_pk_fma_f32 v[20:21], v[58:59], v[38:39], v[20:21] op_sel:[0,0,1] op_sel_hi:[0,1,0] neg_lo:[1,0,0] neg_hi:[1,0,0]
	global_store_dwordx2 v[2:3], v[12:13], off offset:864
	v_pk_add_f32 v[12:13], v[14:15], v[16:17] op_sel:[0,1] op_sel_hi:[1,0] neg_lo:[0,1] neg_hi:[0,1]
	v_pk_add_f32 v[14:15], v[14:15], v[16:17] op_sel:[0,1] op_sel_hi:[1,0]
	v_pk_add_f32 v[16:17], v[8:9], v[32:33] op_sel:[0,1] op_sel_hi:[1,0] neg_lo:[0,1] neg_hi:[0,1]
	v_pk_add_f32 v[8:9], v[8:9], v[32:33] op_sel:[0,1] op_sel_hi:[1,0]
	v_mov_b32_e32 v29, v21
	v_pk_add_f32 v[20:21], v[22:23], v[30:31]
	global_store_dwordx2 v[2:3], v[26:27], off
	v_mov_b32_e32 v26, v12
	v_mov_b32_e32 v27, v15
	;; [unrolled: 1-line block ×6, first 2 shown]
	global_store_dwordx2 v[2:3], v[26:27], off offset:3744
	global_store_dwordx2 v[60:61], v[14:15], off offset:2528
	global_store_dwordx2 v[2:3], v[12:13], off offset:2880
	global_store_dwordx2 v[60:61], v[8:9], off offset:1664
	v_pk_add_f32 v[8:9], v[20:21], v[28:29]
	global_store_dwordx2 v[62:63], v[8:9], off offset:1728
	v_pk_add_f32 v[8:9], v[30:31], v[28:29]
	v_pk_add_f32 v[12:13], v[30:31], v[28:29] neg_lo:[0,1] neg_hi:[0,1]
	v_pk_fma_f32 v[8:9], v[8:9], 0.5, v[22:23] op_sel_hi:[1,0,1] neg_lo:[1,0,0] neg_hi:[1,0,0]
	v_pk_mul_f32 v[12:13], v[12:13], s[0:1] op_sel_hi:[1,0]
	s_nop 0
	v_pk_add_f32 v[14:15], v[8:9], v[12:13] op_sel:[0,1] op_sel_hi:[1,0] neg_lo:[0,1] neg_hi:[0,1]
	v_pk_add_f32 v[8:9], v[8:9], v[12:13] op_sel:[0,1] op_sel_hi:[1,0]
	v_mov_b32_e32 v12, v14
	v_mov_b32_e32 v13, v9
	global_store_dwordx2 v[64:65], v[12:13], off offset:2880
	v_add_co_u32_e32 v12, vcc, 0x1000, v62
	v_mov_b32_e32 v9, v15
	s_nop 0
	v_addc_co_u32_e32 v13, vcc, 0, v63, vcc
	global_store_dwordx2 v[12:13], v[8:9], off offset:3392
	s_and_b64 exec, exec, s[2:3]
	s_cbranch_execz .LBB0_38
; %bb.42:
	v_not_b32_e32 v1, 35
	v_mov_b32_e32 v7, 0x144
	v_cndmask_b32_e64 v1, v1, v7, s[2:3]
	v_add_lshl_u32 v24, v0, v1, 1
	v_lshl_add_u64 v[0:1], v[24:25], 3, s[8:9]
	global_load_dwordx4 v[12:15], v[0:1], off offset:2832
	v_mov_b32_e32 v18, v5
	v_add_co_u32_e32 v0, vcc, 0x1000, v2
	s_waitcnt vmcnt(0)
	v_pk_mul_f32 v[16:17], v[10:11], v[12:13] op_sel:[1,0]
	v_pk_mul_f32 v[10:11], v[10:11], v[14:15] op_sel_hi:[0,1]
	v_pk_fma_f32 v[20:21], v[4:5], v[12:13], v[16:17] op_sel:[0,0,1] op_sel_hi:[1,1,0]
	v_pk_fma_f32 v[4:5], v[4:5], v[12:13], v[16:17] op_sel:[0,0,1] op_sel_hi:[0,1,0] neg_lo:[1,0,0] neg_hi:[1,0,0]
	v_pk_fma_f32 v[12:13], v[6:7], v[14:15], v[10:11] op_sel:[0,0,1] op_sel_hi:[1,1,0]
	v_pk_fma_f32 v[6:7], v[6:7], v[14:15], v[10:11] op_sel:[0,0,1] op_sel_hi:[0,1,0] neg_lo:[1,0,0] neg_hi:[1,0,0]
	v_mov_b32_e32 v21, v5
	v_mov_b32_e32 v13, v7
	v_pk_add_f32 v[6:7], v[20:21], v[12:13]
	v_pk_add_f32 v[10:11], v[20:21], v[12:13] neg_lo:[0,1] neg_hi:[0,1]
	v_addc_co_u32_e32 v1, vcc, 0, v3, vcc
	v_pk_add_f32 v[4:5], v[18:19], v[20:21]
	v_pk_fma_f32 v[6:7], -0.5, v[6:7], v[18:19] op_sel_hi:[0,1,1]
	v_pk_mul_f32 v[10:11], v[10:11], s[0:1] op_sel_hi:[1,0]
	v_add_co_u32_e32 v8, vcc, 0x2000, v2
	v_pk_add_f32 v[4:5], v[4:5], v[12:13]
	v_pk_add_f32 v[12:13], v[6:7], v[10:11] op_sel:[0,1] op_sel_hi:[1,0] neg_lo:[0,1] neg_hi:[0,1]
	v_pk_add_f32 v[6:7], v[6:7], v[10:11] op_sel:[0,1] op_sel_hi:[1,0]
	v_addc_co_u32_e32 v9, vcc, 0, v3, vcc
	global_store_dwordx2 v[2:3], v[4:5], off offset:2592
	v_mov_b32_e32 v2, v12
	v_mov_b32_e32 v3, v7
	v_mov_b32_e32 v7, v13
	global_store_dwordx2 v[0:1], v[2:3], off offset:1376
	global_store_dwordx2 v[8:9], v[6:7], off offset:160
	s_endpgm
	.section	.rodata,"a",@progbits
	.p2align	6, 0x0
	.amdhsa_kernel fft_rtc_back_len1080_factors_6_10_6_3_wgs_216_tpt_108_halfLds_sp_ip_CI_unitstride_sbrr_dirReg
		.amdhsa_group_segment_fixed_size 0
		.amdhsa_private_segment_fixed_size 0
		.amdhsa_kernarg_size 88
		.amdhsa_user_sgpr_count 2
		.amdhsa_user_sgpr_dispatch_ptr 0
		.amdhsa_user_sgpr_queue_ptr 0
		.amdhsa_user_sgpr_kernarg_segment_ptr 1
		.amdhsa_user_sgpr_dispatch_id 0
		.amdhsa_user_sgpr_kernarg_preload_length 0
		.amdhsa_user_sgpr_kernarg_preload_offset 0
		.amdhsa_user_sgpr_private_segment_size 0
		.amdhsa_uses_dynamic_stack 0
		.amdhsa_enable_private_segment 0
		.amdhsa_system_sgpr_workgroup_id_x 1
		.amdhsa_system_sgpr_workgroup_id_y 0
		.amdhsa_system_sgpr_workgroup_id_z 0
		.amdhsa_system_sgpr_workgroup_info 0
		.amdhsa_system_vgpr_workitem_id 0
		.amdhsa_next_free_vgpr 68
		.amdhsa_next_free_sgpr 22
		.amdhsa_accum_offset 68
		.amdhsa_reserve_vcc 1
		.amdhsa_float_round_mode_32 0
		.amdhsa_float_round_mode_16_64 0
		.amdhsa_float_denorm_mode_32 3
		.amdhsa_float_denorm_mode_16_64 3
		.amdhsa_dx10_clamp 1
		.amdhsa_ieee_mode 1
		.amdhsa_fp16_overflow 0
		.amdhsa_tg_split 0
		.amdhsa_exception_fp_ieee_invalid_op 0
		.amdhsa_exception_fp_denorm_src 0
		.amdhsa_exception_fp_ieee_div_zero 0
		.amdhsa_exception_fp_ieee_overflow 0
		.amdhsa_exception_fp_ieee_underflow 0
		.amdhsa_exception_fp_ieee_inexact 0
		.amdhsa_exception_int_div_zero 0
	.end_amdhsa_kernel
	.text
.Lfunc_end0:
	.size	fft_rtc_back_len1080_factors_6_10_6_3_wgs_216_tpt_108_halfLds_sp_ip_CI_unitstride_sbrr_dirReg, .Lfunc_end0-fft_rtc_back_len1080_factors_6_10_6_3_wgs_216_tpt_108_halfLds_sp_ip_CI_unitstride_sbrr_dirReg
                                        ; -- End function
	.section	.AMDGPU.csdata,"",@progbits
; Kernel info:
; codeLenInByte = 6696
; NumSgprs: 28
; NumVgprs: 68
; NumAgprs: 0
; TotalNumVgprs: 68
; ScratchSize: 0
; MemoryBound: 0
; FloatMode: 240
; IeeeMode: 1
; LDSByteSize: 0 bytes/workgroup (compile time only)
; SGPRBlocks: 3
; VGPRBlocks: 8
; NumSGPRsForWavesPerEU: 28
; NumVGPRsForWavesPerEU: 68
; AccumOffset: 68
; Occupancy: 7
; WaveLimiterHint : 1
; COMPUTE_PGM_RSRC2:SCRATCH_EN: 0
; COMPUTE_PGM_RSRC2:USER_SGPR: 2
; COMPUTE_PGM_RSRC2:TRAP_HANDLER: 0
; COMPUTE_PGM_RSRC2:TGID_X_EN: 1
; COMPUTE_PGM_RSRC2:TGID_Y_EN: 0
; COMPUTE_PGM_RSRC2:TGID_Z_EN: 0
; COMPUTE_PGM_RSRC2:TIDIG_COMP_CNT: 0
; COMPUTE_PGM_RSRC3_GFX90A:ACCUM_OFFSET: 16
; COMPUTE_PGM_RSRC3_GFX90A:TG_SPLIT: 0
	.text
	.p2alignl 6, 3212836864
	.fill 256, 4, 3212836864
	.type	__hip_cuid_deac948909a550d7,@object ; @__hip_cuid_deac948909a550d7
	.section	.bss,"aw",@nobits
	.globl	__hip_cuid_deac948909a550d7
__hip_cuid_deac948909a550d7:
	.byte	0                               ; 0x0
	.size	__hip_cuid_deac948909a550d7, 1

	.ident	"AMD clang version 19.0.0git (https://github.com/RadeonOpenCompute/llvm-project roc-6.4.0 25133 c7fe45cf4b819c5991fe208aaa96edf142730f1d)"
	.section	".note.GNU-stack","",@progbits
	.addrsig
	.addrsig_sym __hip_cuid_deac948909a550d7
	.amdgpu_metadata
---
amdhsa.kernels:
  - .agpr_count:     0
    .args:
      - .actual_access:  read_only
        .address_space:  global
        .offset:         0
        .size:           8
        .value_kind:     global_buffer
      - .offset:         8
        .size:           8
        .value_kind:     by_value
      - .actual_access:  read_only
        .address_space:  global
        .offset:         16
        .size:           8
        .value_kind:     global_buffer
      - .actual_access:  read_only
        .address_space:  global
        .offset:         24
        .size:           8
        .value_kind:     global_buffer
      - .offset:         32
        .size:           8
        .value_kind:     by_value
      - .actual_access:  read_only
        .address_space:  global
        .offset:         40
        .size:           8
        .value_kind:     global_buffer
      - .actual_access:  read_only
        .address_space:  global
        .offset:         48
        .size:           8
        .value_kind:     global_buffer
      - .offset:         56
        .size:           4
        .value_kind:     by_value
      - .actual_access:  read_only
        .address_space:  global
        .offset:         64
        .size:           8
        .value_kind:     global_buffer
      - .actual_access:  read_only
        .address_space:  global
        .offset:         72
        .size:           8
        .value_kind:     global_buffer
      - .address_space:  global
        .offset:         80
        .size:           8
        .value_kind:     global_buffer
    .group_segment_fixed_size: 0
    .kernarg_segment_align: 8
    .kernarg_segment_size: 88
    .language:       OpenCL C
    .language_version:
      - 2
      - 0
    .max_flat_workgroup_size: 216
    .name:           fft_rtc_back_len1080_factors_6_10_6_3_wgs_216_tpt_108_halfLds_sp_ip_CI_unitstride_sbrr_dirReg
    .private_segment_fixed_size: 0
    .sgpr_count:     28
    .sgpr_spill_count: 0
    .symbol:         fft_rtc_back_len1080_factors_6_10_6_3_wgs_216_tpt_108_halfLds_sp_ip_CI_unitstride_sbrr_dirReg.kd
    .uniform_work_group_size: 1
    .uses_dynamic_stack: false
    .vgpr_count:     68
    .vgpr_spill_count: 0
    .wavefront_size: 64
amdhsa.target:   amdgcn-amd-amdhsa--gfx950
amdhsa.version:
  - 1
  - 2
...

	.end_amdgpu_metadata
